;; amdgpu-corpus repo=ROCm/rocFFT kind=compiled arch=gfx1201 opt=O3
	.text
	.amdgcn_target "amdgcn-amd-amdhsa--gfx1201"
	.amdhsa_code_object_version 6
	.protected	fft_rtc_fwd_len1152_factors_4_3_8_3_4_wgs_144_tpt_144_halfLds_half_op_CI_CI_unitstride_sbrr_dirReg ; -- Begin function fft_rtc_fwd_len1152_factors_4_3_8_3_4_wgs_144_tpt_144_halfLds_half_op_CI_CI_unitstride_sbrr_dirReg
	.globl	fft_rtc_fwd_len1152_factors_4_3_8_3_4_wgs_144_tpt_144_halfLds_half_op_CI_CI_unitstride_sbrr_dirReg
	.p2align	8
	.type	fft_rtc_fwd_len1152_factors_4_3_8_3_4_wgs_144_tpt_144_halfLds_half_op_CI_CI_unitstride_sbrr_dirReg,@function
fft_rtc_fwd_len1152_factors_4_3_8_3_4_wgs_144_tpt_144_halfLds_half_op_CI_CI_unitstride_sbrr_dirReg: ; @fft_rtc_fwd_len1152_factors_4_3_8_3_4_wgs_144_tpt_144_halfLds_half_op_CI_CI_unitstride_sbrr_dirReg
; %bb.0:
	s_clause 0x2
	s_load_b128 s[8:11], s[0:1], 0x0
	s_load_b128 s[4:7], s[0:1], 0x58
	;; [unrolled: 1-line block ×3, first 2 shown]
	v_mul_u32_u24_e32 v1, 0x1c8, v0
	v_mov_b32_e32 v8, 0
	s_delay_alu instid0(VALU_DEP_2) | instskip(NEXT) | instid1(VALU_DEP_1)
	v_lshrrev_b32_e32 v1, 16, v1
	v_dual_mov_b32 v1, 0 :: v_dual_add_nc_u32 v10, ttmp9, v1
	s_delay_alu instid0(VALU_DEP_3) | instskip(SKIP_2) | instid1(VALU_DEP_1)
	v_dual_mov_b32 v11, v8 :: v_dual_mov_b32 v2, 0
	s_wait_kmcnt 0x0
	v_cmp_lt_u64_e64 s2, s[10:11], 2
	s_and_b32 vcc_lo, exec_lo, s2
	s_cbranch_vccnz .LBB0_8
; %bb.1:
	s_load_b64 s[2:3], s[0:1], 0x10
	v_mov_b32_e32 v1, 0
	v_mov_b32_e32 v2, 0
	s_add_nc_u64 s[16:17], s[14:15], 8
	s_add_nc_u64 s[18:19], s[12:13], 8
	s_mov_b64 s[20:21], 1
	s_delay_alu instid0(VALU_DEP_1)
	v_dual_mov_b32 v5, v2 :: v_dual_mov_b32 v4, v1
	s_wait_kmcnt 0x0
	s_add_nc_u64 s[22:23], s[2:3], 8
	s_mov_b32 s3, 0
.LBB0_2:                                ; =>This Inner Loop Header: Depth=1
	s_load_b64 s[24:25], s[22:23], 0x0
                                        ; implicit-def: $vgpr6_vgpr7
	s_mov_b32 s2, exec_lo
	s_wait_kmcnt 0x0
	v_or_b32_e32 v9, s25, v11
	s_delay_alu instid0(VALU_DEP_1)
	v_cmpx_ne_u64_e32 0, v[8:9]
	s_wait_alu 0xfffe
	s_xor_b32 s26, exec_lo, s2
	s_cbranch_execz .LBB0_4
; %bb.3:                                ;   in Loop: Header=BB0_2 Depth=1
	s_cvt_f32_u32 s2, s24
	s_cvt_f32_u32 s27, s25
	s_sub_nc_u64 s[30:31], 0, s[24:25]
	s_wait_alu 0xfffe
	s_delay_alu instid0(SALU_CYCLE_1) | instskip(SKIP_1) | instid1(SALU_CYCLE_2)
	s_fmamk_f32 s2, s27, 0x4f800000, s2
	s_wait_alu 0xfffe
	v_s_rcp_f32 s2, s2
	s_delay_alu instid0(TRANS32_DEP_1) | instskip(SKIP_1) | instid1(SALU_CYCLE_2)
	s_mul_f32 s2, s2, 0x5f7ffffc
	s_wait_alu 0xfffe
	s_mul_f32 s27, s2, 0x2f800000
	s_wait_alu 0xfffe
	s_delay_alu instid0(SALU_CYCLE_2) | instskip(SKIP_1) | instid1(SALU_CYCLE_2)
	s_trunc_f32 s27, s27
	s_wait_alu 0xfffe
	s_fmamk_f32 s2, s27, 0xcf800000, s2
	s_cvt_u32_f32 s29, s27
	s_wait_alu 0xfffe
	s_delay_alu instid0(SALU_CYCLE_1) | instskip(SKIP_1) | instid1(SALU_CYCLE_2)
	s_cvt_u32_f32 s28, s2
	s_wait_alu 0xfffe
	s_mul_u64 s[34:35], s[30:31], s[28:29]
	s_wait_alu 0xfffe
	s_mul_hi_u32 s37, s28, s35
	s_mul_i32 s36, s28, s35
	s_mul_hi_u32 s2, s28, s34
	s_mul_i32 s33, s29, s34
	s_wait_alu 0xfffe
	s_add_nc_u64 s[36:37], s[2:3], s[36:37]
	s_mul_hi_u32 s27, s29, s34
	s_mul_hi_u32 s38, s29, s35
	s_add_co_u32 s2, s36, s33
	s_wait_alu 0xfffe
	s_add_co_ci_u32 s2, s37, s27
	s_mul_i32 s34, s29, s35
	s_add_co_ci_u32 s35, s38, 0
	s_wait_alu 0xfffe
	s_add_nc_u64 s[34:35], s[2:3], s[34:35]
	s_wait_alu 0xfffe
	v_add_co_u32 v3, s2, s28, s34
	s_delay_alu instid0(VALU_DEP_1) | instskip(SKIP_1) | instid1(VALU_DEP_1)
	s_cmp_lg_u32 s2, 0
	s_add_co_ci_u32 s29, s29, s35
	v_readfirstlane_b32 s28, v3
	s_wait_alu 0xfffe
	s_delay_alu instid0(VALU_DEP_1)
	s_mul_u64 s[30:31], s[30:31], s[28:29]
	s_wait_alu 0xfffe
	s_mul_hi_u32 s35, s28, s31
	s_mul_i32 s34, s28, s31
	s_mul_hi_u32 s2, s28, s30
	s_mul_i32 s33, s29, s30
	s_wait_alu 0xfffe
	s_add_nc_u64 s[34:35], s[2:3], s[34:35]
	s_mul_hi_u32 s27, s29, s30
	s_mul_hi_u32 s28, s29, s31
	s_wait_alu 0xfffe
	s_add_co_u32 s2, s34, s33
	s_add_co_ci_u32 s2, s35, s27
	s_mul_i32 s30, s29, s31
	s_add_co_ci_u32 s31, s28, 0
	s_wait_alu 0xfffe
	s_add_nc_u64 s[30:31], s[2:3], s[30:31]
	s_wait_alu 0xfffe
	v_add_co_u32 v3, s2, v3, s30
	s_delay_alu instid0(VALU_DEP_1) | instskip(SKIP_1) | instid1(VALU_DEP_1)
	s_cmp_lg_u32 s2, 0
	s_add_co_ci_u32 s2, s29, s31
	v_mul_hi_u32 v9, v10, v3
	s_wait_alu 0xfffe
	v_mad_co_u64_u32 v[6:7], null, v10, s2, 0
	v_mad_co_u64_u32 v[12:13], null, v11, v3, 0
	;; [unrolled: 1-line block ×3, first 2 shown]
	s_delay_alu instid0(VALU_DEP_3) | instskip(SKIP_1) | instid1(VALU_DEP_4)
	v_add_co_u32 v3, vcc_lo, v9, v6
	s_wait_alu 0xfffd
	v_add_co_ci_u32_e32 v6, vcc_lo, 0, v7, vcc_lo
	s_delay_alu instid0(VALU_DEP_2) | instskip(SKIP_1) | instid1(VALU_DEP_2)
	v_add_co_u32 v3, vcc_lo, v3, v12
	s_wait_alu 0xfffd
	v_add_co_ci_u32_e32 v3, vcc_lo, v6, v13, vcc_lo
	s_wait_alu 0xfffd
	v_add_co_ci_u32_e32 v6, vcc_lo, 0, v15, vcc_lo
	s_delay_alu instid0(VALU_DEP_2) | instskip(SKIP_1) | instid1(VALU_DEP_2)
	v_add_co_u32 v3, vcc_lo, v3, v14
	s_wait_alu 0xfffd
	v_add_co_ci_u32_e32 v9, vcc_lo, 0, v6, vcc_lo
	s_delay_alu instid0(VALU_DEP_2) | instskip(SKIP_1) | instid1(VALU_DEP_3)
	v_mul_lo_u32 v12, s25, v3
	v_mad_co_u64_u32 v[6:7], null, s24, v3, 0
	v_mul_lo_u32 v13, s24, v9
	s_delay_alu instid0(VALU_DEP_2) | instskip(NEXT) | instid1(VALU_DEP_2)
	v_sub_co_u32 v6, vcc_lo, v10, v6
	v_add3_u32 v7, v7, v13, v12
	s_delay_alu instid0(VALU_DEP_1) | instskip(SKIP_1) | instid1(VALU_DEP_1)
	v_sub_nc_u32_e32 v12, v11, v7
	s_wait_alu 0xfffd
	v_subrev_co_ci_u32_e64 v12, s2, s25, v12, vcc_lo
	v_add_co_u32 v13, s2, v3, 2
	s_wait_alu 0xf1ff
	v_add_co_ci_u32_e64 v14, s2, 0, v9, s2
	v_sub_co_u32 v15, s2, v6, s24
	v_sub_co_ci_u32_e32 v7, vcc_lo, v11, v7, vcc_lo
	s_wait_alu 0xf1ff
	v_subrev_co_ci_u32_e64 v12, s2, 0, v12, s2
	s_delay_alu instid0(VALU_DEP_3) | instskip(NEXT) | instid1(VALU_DEP_3)
	v_cmp_le_u32_e32 vcc_lo, s24, v15
	v_cmp_eq_u32_e64 s2, s25, v7
	s_wait_alu 0xfffd
	v_cndmask_b32_e64 v15, 0, -1, vcc_lo
	v_cmp_le_u32_e32 vcc_lo, s25, v12
	s_wait_alu 0xfffd
	v_cndmask_b32_e64 v16, 0, -1, vcc_lo
	v_cmp_le_u32_e32 vcc_lo, s24, v6
	;; [unrolled: 3-line block ×3, first 2 shown]
	s_wait_alu 0xfffd
	v_cndmask_b32_e64 v17, 0, -1, vcc_lo
	v_cmp_eq_u32_e32 vcc_lo, s25, v12
	s_wait_alu 0xf1ff
	s_delay_alu instid0(VALU_DEP_2)
	v_cndmask_b32_e64 v6, v17, v6, s2
	s_wait_alu 0xfffd
	v_cndmask_b32_e32 v12, v16, v15, vcc_lo
	v_add_co_u32 v15, vcc_lo, v3, 1
	s_wait_alu 0xfffd
	v_add_co_ci_u32_e32 v16, vcc_lo, 0, v9, vcc_lo
	s_delay_alu instid0(VALU_DEP_3) | instskip(SKIP_1) | instid1(VALU_DEP_2)
	v_cmp_ne_u32_e32 vcc_lo, 0, v12
	s_wait_alu 0xfffd
	v_dual_cndmask_b32 v7, v16, v14 :: v_dual_cndmask_b32 v12, v15, v13
	v_cmp_ne_u32_e32 vcc_lo, 0, v6
	s_wait_alu 0xfffd
	s_delay_alu instid0(VALU_DEP_2)
	v_dual_cndmask_b32 v7, v9, v7 :: v_dual_cndmask_b32 v6, v3, v12
.LBB0_4:                                ;   in Loop: Header=BB0_2 Depth=1
	s_wait_alu 0xfffe
	s_and_not1_saveexec_b32 s2, s26
	s_cbranch_execz .LBB0_6
; %bb.5:                                ;   in Loop: Header=BB0_2 Depth=1
	v_cvt_f32_u32_e32 v3, s24
	s_sub_co_i32 s26, 0, s24
	s_delay_alu instid0(VALU_DEP_1) | instskip(NEXT) | instid1(TRANS32_DEP_1)
	v_rcp_iflag_f32_e32 v3, v3
	v_mul_f32_e32 v3, 0x4f7ffffe, v3
	s_delay_alu instid0(VALU_DEP_1) | instskip(SKIP_1) | instid1(VALU_DEP_1)
	v_cvt_u32_f32_e32 v3, v3
	s_wait_alu 0xfffe
	v_mul_lo_u32 v6, s26, v3
	s_delay_alu instid0(VALU_DEP_1) | instskip(NEXT) | instid1(VALU_DEP_1)
	v_mul_hi_u32 v6, v3, v6
	v_add_nc_u32_e32 v3, v3, v6
	s_delay_alu instid0(VALU_DEP_1) | instskip(NEXT) | instid1(VALU_DEP_1)
	v_mul_hi_u32 v3, v10, v3
	v_mul_lo_u32 v6, v3, s24
	v_add_nc_u32_e32 v7, 1, v3
	s_delay_alu instid0(VALU_DEP_2) | instskip(NEXT) | instid1(VALU_DEP_1)
	v_sub_nc_u32_e32 v6, v10, v6
	v_subrev_nc_u32_e32 v9, s24, v6
	v_cmp_le_u32_e32 vcc_lo, s24, v6
	s_wait_alu 0xfffd
	s_delay_alu instid0(VALU_DEP_2) | instskip(NEXT) | instid1(VALU_DEP_1)
	v_dual_cndmask_b32 v6, v6, v9 :: v_dual_cndmask_b32 v3, v3, v7
	v_cmp_le_u32_e32 vcc_lo, s24, v6
	s_delay_alu instid0(VALU_DEP_2) | instskip(SKIP_1) | instid1(VALU_DEP_1)
	v_add_nc_u32_e32 v7, 1, v3
	s_wait_alu 0xfffd
	v_dual_cndmask_b32 v6, v3, v7 :: v_dual_mov_b32 v7, v8
.LBB0_6:                                ;   in Loop: Header=BB0_2 Depth=1
	s_wait_alu 0xfffe
	s_or_b32 exec_lo, exec_lo, s2
	s_delay_alu instid0(VALU_DEP_1) | instskip(NEXT) | instid1(VALU_DEP_2)
	v_mul_lo_u32 v3, v7, s24
	v_mul_lo_u32 v9, v6, s25
	s_load_b64 s[26:27], s[18:19], 0x0
	v_mad_co_u64_u32 v[12:13], null, v6, s24, 0
	s_load_b64 s[24:25], s[16:17], 0x0
	s_add_nc_u64 s[20:21], s[20:21], 1
	s_add_nc_u64 s[16:17], s[16:17], 8
	s_wait_alu 0xfffe
	v_cmp_ge_u64_e64 s2, s[20:21], s[10:11]
	s_add_nc_u64 s[18:19], s[18:19], 8
	s_add_nc_u64 s[22:23], s[22:23], 8
	v_add3_u32 v3, v13, v9, v3
	v_sub_co_u32 v9, vcc_lo, v10, v12
	s_wait_alu 0xfffd
	s_delay_alu instid0(VALU_DEP_2) | instskip(SKIP_2) | instid1(VALU_DEP_1)
	v_sub_co_ci_u32_e32 v3, vcc_lo, v11, v3, vcc_lo
	s_and_b32 vcc_lo, exec_lo, s2
	s_wait_kmcnt 0x0
	v_mul_lo_u32 v10, s26, v3
	v_mul_lo_u32 v11, s27, v9
	v_mad_co_u64_u32 v[1:2], null, s26, v9, v[1:2]
	v_mul_lo_u32 v3, s24, v3
	v_mul_lo_u32 v12, s25, v9
	v_mad_co_u64_u32 v[4:5], null, s24, v9, v[4:5]
	s_delay_alu instid0(VALU_DEP_4) | instskip(NEXT) | instid1(VALU_DEP_2)
	v_add3_u32 v2, v11, v2, v10
	v_add3_u32 v5, v12, v5, v3
	s_wait_alu 0xfffe
	s_cbranch_vccnz .LBB0_9
; %bb.7:                                ;   in Loop: Header=BB0_2 Depth=1
	v_dual_mov_b32 v11, v7 :: v_dual_mov_b32 v10, v6
	s_branch .LBB0_2
.LBB0_8:
	v_dual_mov_b32 v5, v2 :: v_dual_mov_b32 v4, v1
	v_dual_mov_b32 v6, v10 :: v_dual_mov_b32 v7, v11
.LBB0_9:
	s_load_b64 s[0:1], s[0:1], 0x28
	v_mul_hi_u32 v13, 0x1c71c72, v0
	s_lshl_b64 s[10:11], s[10:11], 3
                                        ; implicit-def: $sgpr2
                                        ; implicit-def: $vgpr8
	s_wait_kmcnt 0x0
	v_cmp_gt_u64_e32 vcc_lo, s[0:1], v[6:7]
	v_cmp_le_u64_e64 s0, s[0:1], v[6:7]
	s_delay_alu instid0(VALU_DEP_1)
	s_and_saveexec_b32 s1, s0
	s_wait_alu 0xfffe
	s_xor_b32 s0, exec_lo, s1
; %bb.10:
	v_mul_u32_u24_e32 v1, 0x90, v13
	s_mov_b32 s2, 0
                                        ; implicit-def: $vgpr13
	s_delay_alu instid0(VALU_DEP_1)
	v_sub_nc_u32_e32 v8, v0, v1
                                        ; implicit-def: $vgpr0
                                        ; implicit-def: $vgpr1_vgpr2
; %bb.11:
	s_wait_alu 0xfffe
	s_or_saveexec_b32 s1, s0
	v_dual_mov_b32 v3, s2 :: v_dual_mov_b32 v10, s2
	v_dual_mov_b32 v12, s2 :: v_dual_mov_b32 v9, s2
	s_add_nc_u64 s[2:3], s[14:15], s[10:11]
                                        ; implicit-def: $vgpr15
                                        ; implicit-def: $vgpr11
                                        ; implicit-def: $vgpr17
                                        ; implicit-def: $vgpr20
                                        ; implicit-def: $vgpr16
                                        ; implicit-def: $vgpr19
                                        ; implicit-def: $vgpr18
                                        ; implicit-def: $vgpr14
	s_wait_alu 0xfffe
	s_xor_b32 exec_lo, exec_lo, s1
	s_cbranch_execz .LBB0_13
; %bb.12:
	s_add_nc_u64 s[10:11], s[12:13], s[10:11]
	v_lshlrev_b64_e32 v[1:2], 2, v[1:2]
	s_load_b64 s[10:11], s[10:11], 0x0
	s_wait_kmcnt 0x0
	v_mul_lo_u32 v3, s11, v6
	v_mul_lo_u32 v10, s10, v7
	v_mad_co_u64_u32 v[8:9], null, s10, v6, 0
	s_delay_alu instid0(VALU_DEP_1) | instskip(SKIP_1) | instid1(VALU_DEP_2)
	v_add3_u32 v9, v9, v10, v3
	v_mul_u32_u24_e32 v3, 0x90, v13
	v_lshlrev_b64_e32 v[9:10], 2, v[8:9]
	s_delay_alu instid0(VALU_DEP_2) | instskip(NEXT) | instid1(VALU_DEP_2)
	v_sub_nc_u32_e32 v8, v0, v3
	v_add_co_u32 v0, s0, s4, v9
	s_wait_alu 0xf1ff
	s_delay_alu instid0(VALU_DEP_3) | instskip(NEXT) | instid1(VALU_DEP_3)
	v_add_co_ci_u32_e64 v3, s0, s5, v10, s0
	v_lshlrev_b32_e32 v9, 2, v8
	s_delay_alu instid0(VALU_DEP_3) | instskip(SKIP_1) | instid1(VALU_DEP_3)
	v_add_co_u32 v0, s0, v0, v1
	s_wait_alu 0xf1ff
	v_add_co_ci_u32_e64 v1, s0, v3, v2, s0
	s_delay_alu instid0(VALU_DEP_2) | instskip(SKIP_1) | instid1(VALU_DEP_2)
	v_add_co_u32 v0, s0, v0, v9
	s_wait_alu 0xf1ff
	v_add_co_ci_u32_e64 v1, s0, 0, v1, s0
	s_clause 0x7
	global_load_b32 v11, v[0:1], off offset:2304
	global_load_b32 v14, v[0:1], off offset:4032
	;; [unrolled: 1-line block ×4, first 2 shown]
	global_load_b32 v3, v[0:1], off
	global_load_b32 v9, v[0:1], off offset:1728
	global_load_b32 v10, v[0:1], off offset:1152
	;; [unrolled: 1-line block ×3, first 2 shown]
	s_wait_loadcnt 0x7
	v_lshrrev_b32_e32 v15, 16, v11
	s_wait_loadcnt 0x6
	v_lshrrev_b32_e32 v18, 16, v14
	;; [unrolled: 2-line block ×4, first 2 shown]
.LBB0_13:
	s_or_b32 exec_lo, exec_lo, s1
	s_wait_loadcnt 0x3
	v_sub_f16_e32 v11, v3, v11
	s_wait_loadcnt 0x1
	v_lshrrev_b32_e32 v21, 16, v10
	v_sub_f16_e32 v1, v10, v20
	s_wait_loadcnt 0x0
	v_sub_f16_e32 v13, v12, v19
	v_sub_f16_e32 v22, v9, v14
	v_lshrrev_b32_e32 v25, 16, v9
	v_fma_f16 v14, v3, 2.0, -v11
	v_sub_f16_e32 v26, v21, v17
	v_fma_f16 v0, v10, 2.0, -v1
	v_fma_f16 v10, v12, 2.0, -v13
	;; [unrolled: 1-line block ×3, first 2 shown]
	v_sub_f16_e32 v27, v25, v18
	v_sub_f16_e32 v17, v11, v26
	v_sub_f16_e32 v9, v14, v0
	v_lshl_add_u32 v23, v8, 3, 0
	v_sub_f16_e32 v0, v10, v2
	v_sub_f16_e32 v2, v13, v27
	v_fma_f16 v11, v11, 2.0, -v17
	v_fma_f16 v14, v14, 2.0, -v9
	v_pack_b32_f16 v9, v9, v17
	v_fma_f16 v18, v10, 2.0, -v0
	v_add_nc_u32_e32 v10, 0x90, v8
	v_fma_f16 v13, v13, 2.0, -v2
	v_pack_b32_f16 v11, v14, v11
	v_pack_b32_f16 v14, v0, v2
	s_load_b64 s[2:3], s[2:3], 0x0
	v_lshl_add_u32 v24, v10, 3, 0
	v_pack_b32_f16 v13, v18, v13
	ds_store_2addr_b32 v23, v11, v9 offset1:1
	ds_store_2addr_b32 v24, v13, v14 offset1:1
	v_mad_i32_i24 v9, v8, -6, v23
	global_wb scope:SCOPE_SE
	s_wait_dscnt 0x0
	s_wait_kmcnt 0x0
	s_barrier_signal -1
	s_barrier_wait -1
	global_inv scope:SCOPE_SE
	ds_load_u16 v13, v9
	ds_load_u16 v11, v9 offset:1824
	ds_load_u16 v18, v9 offset:1536
	;; [unrolled: 1-line block ×5, first 2 shown]
	v_mul_i32_i24_e32 v9, -6, v8
	v_cmp_gt_u32_e64 s0, 0x60, v8
                                        ; implicit-def: $vgpr20
	s_delay_alu instid0(VALU_DEP_2) | instskip(NEXT) | instid1(VALU_DEP_2)
	v_add_nc_u32_e32 v9, v23, v9
	s_and_saveexec_b32 s1, s0
	s_cbranch_execz .LBB0_15
; %bb.14:
	ds_load_u16 v0, v9 offset:576
	ds_load_u16 v2, v9 offset:1344
	;; [unrolled: 1-line block ×3, first 2 shown]
.LBB0_15:
	s_wait_alu 0xfffe
	s_or_b32 exec_lo, exec_lo, s1
	v_lshrrev_b32_e32 v3, 16, v3
	v_lshrrev_b32_e32 v12, 16, v12
	v_fma_f16 v26, v21, 2.0, -v26
	v_fma_f16 v25, v25, 2.0, -v27
	global_wb scope:SCOPE_SE
	s_wait_dscnt 0x0
	v_sub_f16_e32 v15, v3, v15
	v_sub_f16_e32 v16, v12, v16
	s_barrier_signal -1
	s_barrier_wait -1
	global_inv scope:SCOPE_SE
	v_fma_f16 v3, v3, 2.0, -v15
	v_fma_f16 v12, v12, 2.0, -v16
	v_add_f16_e32 v27, v15, v1
	v_add_f16_e32 v21, v16, v22
                                        ; implicit-def: $vgpr28
	s_delay_alu instid0(VALU_DEP_4) | instskip(NEXT) | instid1(VALU_DEP_4)
	v_sub_f16_e32 v22, v3, v26
	v_sub_f16_e32 v1, v12, v25
	s_delay_alu instid0(VALU_DEP_4) | instskip(NEXT) | instid1(VALU_DEP_4)
	v_fma_f16 v15, v15, 2.0, -v27
	v_fma_f16 v16, v16, 2.0, -v21
	s_delay_alu instid0(VALU_DEP_4) | instskip(NEXT) | instid1(VALU_DEP_4)
	v_fma_f16 v3, v3, 2.0, -v22
	v_fma_f16 v12, v12, 2.0, -v1
	v_pack_b32_f16 v22, v22, v27
	v_pack_b32_f16 v25, v1, v21
	s_delay_alu instid0(VALU_DEP_4) | instskip(NEXT) | instid1(VALU_DEP_4)
	v_pack_b32_f16 v3, v3, v15
	v_pack_b32_f16 v12, v12, v16
	ds_store_2addr_b32 v23, v3, v22 offset1:1
	ds_store_2addr_b32 v24, v12, v25 offset1:1
	global_wb scope:SCOPE_SE
	s_wait_dscnt 0x0
	s_barrier_signal -1
	s_barrier_wait -1
	global_inv scope:SCOPE_SE
	ds_load_u16 v3, v9
	ds_load_u16 v22, v9 offset:1824
	ds_load_u16 v27, v9 offset:1536
	;; [unrolled: 1-line block ×5, first 2 shown]
	s_and_saveexec_b32 s1, s0
	s_cbranch_execz .LBB0_17
; %bb.16:
	ds_load_u16 v1, v9 offset:576
	ds_load_u16 v21, v9 offset:1344
	;; [unrolled: 1-line block ×3, first 2 shown]
.LBB0_17:
	s_wait_alu 0xfffe
	s_or_b32 exec_lo, exec_lo, s1
	v_and_b32_e32 v16, 3, v8
	v_lshrrev_b32_e32 v24, 2, v8
	v_lshrrev_b32_e32 v25, 2, v10
	s_delay_alu instid0(VALU_DEP_3) | instskip(NEXT) | instid1(VALU_DEP_3)
	v_lshlrev_b32_e32 v12, 3, v16
	v_mul_u32_u24_e32 v26, 12, v24
	s_delay_alu instid0(VALU_DEP_3)
	v_mul_u32_u24_e32 v25, 12, v25
	global_load_b64 v[37:38], v12, s[8:9]
	v_or_b32_e32 v26, v26, v16
	v_or_b32_e32 v25, v25, v16
	v_add_nc_u32_e32 v12, 0x120, v8
	global_wb scope:SCOPE_SE
	s_wait_loadcnt_dscnt 0x0
	s_barrier_signal -1
	v_lshl_add_u32 v30, v26, 1, 0
	v_lshl_add_u32 v29, v25, 1, 0
	v_lshrrev_b32_e32 v24, 2, v12
	s_barrier_wait -1
	global_inv scope:SCOPE_SE
	v_lshrrev_b32_e32 v34, 16, v37
	v_lshrrev_b32_e32 v39, 16, v38
	s_delay_alu instid0(VALU_DEP_2) | instskip(SKIP_1) | instid1(VALU_DEP_3)
	v_mul_f16_e32 v40, v31, v34
	v_mul_f16_e32 v36, v19, v34
	;; [unrolled: 1-line block ×11, first 2 shown]
	v_fma_f16 v19, v19, v37, -v40
	v_fma_f16 v18, v18, v38, -v41
	;; [unrolled: 1-line block ×4, first 2 shown]
	v_mul_f16_e32 v32, v11, v39
	v_fmac_f16_e32 v36, v31, v37
	v_fmac_f16_e32 v33, v27, v38
	v_fma_f16 v27, v17, v37, -v42
	v_fma_f16 v31, v11, v38, -v43
	v_fmac_f16_e32 v35, v23, v37
	v_fmac_f16_e32 v26, v21, v37
	;; [unrolled: 1-line block ×3, first 2 shown]
	v_add_f16_e32 v20, v19, v18
	v_add_f16_e32 v37, v2, v34
	v_fmac_f16_e32 v32, v22, v38
	v_add_f16_e32 v23, v27, v31
	v_add_f16_e32 v11, v13, v19
	v_sub_f16_e32 v17, v26, v25
	v_fmac_f16_e32 v13, -0.5, v20
	v_fma_f16 v20, -0.5, v37, v0
	v_sub_f16_e32 v21, v36, v33
	v_add_f16_e32 v22, v14, v27
	v_sub_f16_e32 v28, v35, v32
	v_fmac_f16_e32 v14, -0.5, v23
	v_add_f16_e32 v38, v11, v18
	v_fmamk_f16 v11, v17, 0xbaee, v20
	v_fmamk_f16 v23, v21, 0x3aee, v13
	v_fmac_f16_e32 v13, 0xbaee, v21
	v_add_f16_e32 v22, v22, v31
	v_fmamk_f16 v21, v28, 0x3aee, v14
	v_fmac_f16_e32 v14, 0xbaee, v28
	ds_store_b16 v30, v38
	ds_store_b16 v30, v23 offset:8
	ds_store_b16 v30, v13 offset:16
	ds_store_b16 v29, v22
	ds_store_b16 v29, v21 offset:8
	ds_store_b16 v29, v14 offset:16
	s_and_saveexec_b32 s1, s0
	s_cbranch_execz .LBB0_19
; %bb.18:
	v_mul_u32_u24_e32 v13, 12, v24
	v_add_f16_e32 v0, v0, v2
	v_mul_f16_e32 v14, 0x3aee, v17
	s_delay_alu instid0(VALU_DEP_3) | instskip(NEXT) | instid1(VALU_DEP_3)
	v_or_b32_e32 v13, v13, v16
	v_add_f16_e32 v0, v0, v34
	s_delay_alu instid0(VALU_DEP_3) | instskip(NEXT) | instid1(VALU_DEP_3)
	v_add_f16_e32 v14, v14, v20
	v_lshl_add_u32 v13, v13, 1, 0
	ds_store_b16 v13, v0
	ds_store_b16 v13, v14 offset:8
	ds_store_b16 v13, v11 offset:16
.LBB0_19:
	s_wait_alu 0xfffe
	s_or_b32 exec_lo, exec_lo, s1
	v_sub_f16_e32 v28, v19, v18
	global_wb scope:SCOPE_SE
	s_wait_dscnt 0x0
	s_barrier_signal -1
	s_barrier_wait -1
	global_inv scope:SCOPE_SE
	ds_load_u16 v17, v9
	ds_load_u16 v23, v9 offset:288
	ds_load_u16 v22, v9 offset:576
	;; [unrolled: 1-line block ×7, first 2 shown]
	v_add_f16_e32 v0, v36, v33
	v_add_f16_e32 v13, v3, v36
	;; [unrolled: 1-line block ×4, first 2 shown]
	v_sub_f16_e32 v2, v2, v34
	v_fmac_f16_e32 v3, -0.5, v0
	v_add_f16_e32 v0, v26, v25
	v_add_f16_e32 v33, v13, v33
	v_fmac_f16_e32 v15, -0.5, v35
	v_sub_f16_e32 v13, v27, v31
	v_fmamk_f16 v37, v28, 0xbaee, v3
	v_fma_f16 v0, -0.5, v0, v1
	v_fmac_f16_e32 v3, 0x3aee, v28
	v_add_f16_e32 v27, v36, v32
	v_fmamk_f16 v28, v13, 0xbaee, v15
	v_fmac_f16_e32 v15, 0x3aee, v13
	v_fmamk_f16 v13, v2, 0x3aee, v0
	global_wb scope:SCOPE_SE
	s_wait_dscnt 0x0
	s_barrier_signal -1
	s_barrier_wait -1
	global_inv scope:SCOPE_SE
	ds_store_b16 v30, v33
	ds_store_b16 v30, v37 offset:8
	ds_store_b16 v30, v3 offset:16
	ds_store_b16 v29, v27
	ds_store_b16 v29, v28 offset:8
	ds_store_b16 v29, v15 offset:16
	s_and_saveexec_b32 s1, s0
	s_cbranch_execz .LBB0_21
; %bb.20:
	v_mul_u32_u24_e32 v3, 12, v24
	v_add_f16_e32 v1, v1, v26
	v_mul_f16_e32 v2, 0x3aee, v2
	s_delay_alu instid0(VALU_DEP_3) | instskip(NEXT) | instid1(VALU_DEP_3)
	v_or_b32_e32 v3, v3, v16
	v_add_f16_e32 v1, v1, v25
	s_delay_alu instid0(VALU_DEP_3) | instskip(NEXT) | instid1(VALU_DEP_3)
	v_sub_f16_e32 v0, v0, v2
	v_lshl_add_u32 v3, v3, 1, 0
	ds_store_b16 v3, v1
	ds_store_b16 v3, v0 offset:8
	ds_store_b16 v3, v13 offset:16
.LBB0_21:
	s_wait_alu 0xfffe
	s_or_b32 exec_lo, exec_lo, s1
	v_and_b32_e32 v0, 0xff, v8
	global_wb scope:SCOPE_SE
	s_wait_dscnt 0x0
	s_barrier_signal -1
	s_barrier_wait -1
	global_inv scope:SCOPE_SE
	v_mul_lo_u16 v0, 0xab, v0
	s_delay_alu instid0(VALU_DEP_1) | instskip(NEXT) | instid1(VALU_DEP_1)
	v_lshrrev_b16 v15, 11, v0
	v_mul_lo_u16 v0, v15, 12
	v_and_b32_e32 v15, 0xffff, v15
	s_delay_alu instid0(VALU_DEP_2) | instskip(NEXT) | instid1(VALU_DEP_2)
	v_sub_nc_u16 v0, v8, v0
	v_mul_u32_u24_e32 v15, 0x60, v15
	s_delay_alu instid0(VALU_DEP_2) | instskip(NEXT) | instid1(VALU_DEP_1)
	v_and_b32_e32 v16, 0xff, v0
	v_mul_u32_u24_e32 v0, 7, v16
	s_delay_alu instid0(VALU_DEP_3) | instskip(NEXT) | instid1(VALU_DEP_2)
	v_or_b32_e32 v15, v15, v16
	v_lshlrev_b32_e32 v24, 2, v0
	s_clause 0x1
	global_load_b128 v[0:3], v24, s[8:9] offset:32
	global_load_b96 v[29:31], v24, s[8:9] offset:48
	ds_load_u16 v32, v9 offset:288
	ds_load_u16 v33, v9 offset:576
	;; [unrolled: 1-line block ×5, first 2 shown]
	ds_load_u16 v25, v9
	ds_load_u16 v35, v9 offset:1728
	ds_load_u16 v36, v9 offset:2016
	v_lshl_add_u32 v24, v15, 1, 0
	global_wb scope:SCOPE_SE
	s_wait_loadcnt_dscnt 0x0
	s_barrier_signal -1
	s_barrier_wait -1
	global_inv scope:SCOPE_SE
	v_lshrrev_b32_e32 v15, 16, v0
	v_lshrrev_b32_e32 v28, 16, v1
	;; [unrolled: 1-line block ×7, first 2 shown]
	v_mul_f16_e32 v41, v32, v15
	v_mul_f16_e32 v15, v23, v15
	;; [unrolled: 1-line block ×13, first 2 shown]
	v_fma_f16 v41, v23, v0, -v41
	v_fmac_f16_e32 v15, v32, v0
	v_fma_f16 v0, v22, v1, -v42
	v_fmac_f16_e32 v28, v33, v1
	;; [unrolled: 2-line block ×3, first 2 shown]
	v_fma_f16 v2, v14, v3, -v44
	v_fma_f16 v20, v20, v29, -v45
	v_fmac_f16_e32 v38, v16, v29
	v_fma_f16 v16, v19, v30, -v46
	v_fma_f16 v18, v18, v31, -v47
	v_fmac_f16_e32 v39, v35, v30
	v_fmac_f16_e32 v40, v36, v31
	v_sub_f16_e32 v2, v17, v2
	v_sub_f16_e32 v22, v0, v16
	;; [unrolled: 1-line block ×7, first 2 shown]
	v_fma_f16 v21, v17, 2.0, -v2
	v_fma_f16 v0, v0, 2.0, -v22
	;; [unrolled: 1-line block ×5, first 2 shown]
	v_sub_f16_e32 v15, v2, v23
	v_sub_f16_e32 v31, v16, v20
	v_add_f16_e32 v32, v19, v18
	v_sub_f16_e32 v18, v21, v0
	v_sub_f16_e32 v0, v29, v1
	v_fma_f16 v30, v2, 2.0, -v15
	v_fma_f16 v33, v16, 2.0, -v31
	v_fma_f16 v1, v37, 2.0, -v20
	v_fma_f16 v34, v19, 2.0, -v32
	v_fma_f16 v16, v21, 2.0, -v18
	v_fma_f16 v19, v29, 2.0, -v0
	v_fmamk_f16 v20, v33, 0xb9a8, v30
	v_sub_f16_e32 v29, v17, v1
	v_fmamk_f16 v2, v31, 0x39a8, v15
	v_mul_f16_e32 v31, 0x39a8, v31
	v_sub_f16_e32 v19, v16, v19
	v_fmac_f16_e32 v20, 0xb9a8, v34
	v_sub_f16_e32 v1, v18, v29
	v_fmac_f16_e32 v2, 0xb9a8, v32
	v_mul_f16_e32 v32, 0x39a8, v32
	v_fma_f16 v16, v16, 2.0, -v19
	v_fma_f16 v21, v30, 2.0, -v20
	;; [unrolled: 1-line block ×4, first 2 shown]
	ds_store_b16 v24, v16
	ds_store_b16 v24, v21 offset:24
	ds_store_b16 v24, v18 offset:48
	;; [unrolled: 1-line block ×7, first 2 shown]
	global_wb scope:SCOPE_SE
	s_wait_dscnt 0x0
	s_barrier_signal -1
	s_barrier_wait -1
	global_inv scope:SCOPE_SE
	ds_load_u16 v15, v9
	ds_load_u16 v18, v9 offset:1824
	ds_load_u16 v20, v9 offset:1536
	;; [unrolled: 1-line block ×5, first 2 shown]
	v_mul_f16_e32 v30, 0x39a8, v33
	v_mul_f16_e32 v33, 0x39a8, v34
	s_and_saveexec_b32 s1, s0
	s_cbranch_execz .LBB0_23
; %bb.22:
	ds_load_u16 v1, v9 offset:576
	ds_load_u16 v2, v9 offset:1344
	;; [unrolled: 1-line block ×3, first 2 shown]
.LBB0_23:
	s_wait_alu 0xfffe
	s_or_b32 exec_lo, exec_lo, s1
	v_mul_f16_e32 v14, v14, v27
	global_wb scope:SCOPE_SE
	s_wait_dscnt 0x0
	s_barrier_signal -1
	s_barrier_wait -1
	global_inv scope:SCOPE_SE
	v_fmac_f16_e32 v14, v26, v3
	s_delay_alu instid0(VALU_DEP_1) | instskip(SKIP_1) | instid1(VALU_DEP_2)
	v_sub_f16_e32 v3, v25, v14
	v_fma_f16 v14, v28, 2.0, -v23
	v_fma_f16 v23, v25, 2.0, -v3
	v_add_f16_e32 v22, v3, v22
	s_delay_alu instid0(VALU_DEP_2) | instskip(NEXT) | instid1(VALU_DEP_2)
	v_sub_f16_e32 v14, v23, v14
	v_fma_f16 v25, v3, 2.0, -v22
	v_fma_f16 v3, v17, 2.0, -v29
	v_add_f16_e32 v26, v22, v32
	s_delay_alu instid0(VALU_DEP_4) | instskip(NEXT) | instid1(VALU_DEP_4)
	v_fma_f16 v17, v23, 2.0, -v14
	v_sub_f16_e32 v23, v25, v33
	v_add_f16_e32 v0, v14, v0
	s_delay_alu instid0(VALU_DEP_3) | instskip(NEXT) | instid1(VALU_DEP_3)
	v_sub_f16_e32 v27, v17, v3
	v_add_f16_e32 v23, v30, v23
	v_add_f16_e32 v3, v31, v26
	s_delay_alu instid0(VALU_DEP_4) | instskip(NEXT) | instid1(VALU_DEP_4)
	v_fma_f16 v14, v14, 2.0, -v0
	v_fma_f16 v17, v17, 2.0, -v27
	s_delay_alu instid0(VALU_DEP_4) | instskip(NEXT) | instid1(VALU_DEP_4)
	v_fma_f16 v25, v25, 2.0, -v23
	v_fma_f16 v22, v22, 2.0, -v3
	ds_store_b16 v24, v17
	ds_store_b16 v24, v25 offset:24
	ds_store_b16 v24, v14 offset:48
	;; [unrolled: 1-line block ×7, first 2 shown]
	global_wb scope:SCOPE_SE
	s_wait_dscnt 0x0
	s_barrier_signal -1
	s_barrier_wait -1
	global_inv scope:SCOPE_SE
	ds_load_u16 v14, v9
	ds_load_u16 v22, v9 offset:1824
	ds_load_u16 v24, v9 offset:1536
	;; [unrolled: 1-line block ×5, first 2 shown]
	s_and_saveexec_b32 s1, s0
	s_cbranch_execz .LBB0_25
; %bb.24:
	ds_load_u16 v0, v9 offset:576
	ds_load_u16 v3, v9 offset:1344
	ds_load_u16 v13, v9 offset:2112
.LBB0_25:
	s_wait_alu 0xfffe
	s_or_b32 exec_lo, exec_lo, s1
	v_dual_mov_b32 v28, 0 :: v_dual_and_b32 v25, 0xffff, v10
	v_add_nc_u32_e32 v27, 0xffffffa0, v8
	v_and_b32_e32 v29, 0xffff, v12
	s_delay_alu instid0(VALU_DEP_3) | instskip(NEXT) | instid1(VALU_DEP_3)
	v_mul_u32_u24_e32 v25, 0xaaab, v25
	v_cndmask_b32_e64 v27, v27, v8, s0
	s_delay_alu instid0(VALU_DEP_3) | instskip(NEXT) | instid1(VALU_DEP_3)
	v_mul_u32_u24_e32 v29, 0xaaab, v29
	v_lshrrev_b32_e32 v25, 22, v25
	s_delay_alu instid0(VALU_DEP_3) | instskip(NEXT) | instid1(VALU_DEP_3)
	v_lshlrev_b32_e32 v27, 1, v27
	v_lshrrev_b32_e32 v30, 22, v29
	s_delay_alu instid0(VALU_DEP_3) | instskip(NEXT) | instid1(VALU_DEP_3)
	v_mul_lo_u16 v31, 0x60, v25
	v_lshlrev_b64_e32 v[28:29], 2, v[27:28]
	s_delay_alu instid0(VALU_DEP_3) | instskip(NEXT) | instid1(VALU_DEP_3)
	v_mul_lo_u16 v30, 0x60, v30
	v_sub_nc_u16 v31, v10, v31
	s_delay_alu instid0(VALU_DEP_2) | instskip(NEXT) | instid1(VALU_DEP_4)
	v_sub_nc_u16 v12, v12, v30
	v_add_co_u32 v28, s1, s8, v28
	s_wait_alu 0xf1ff
	v_add_co_ci_u32_e64 v29, s1, s9, v29, s1
	v_and_b32_e32 v30, 0xffff, v31
	v_and_b32_e32 v12, 0xffff, v12
	v_cmp_lt_u32_e64 s1, 0x5f, v8
	global_load_b64 v[32:33], v[28:29], off offset:368
	v_lshlrev_b32_e32 v28, 3, v30
	v_lshlrev_b32_e32 v29, 3, v12
	s_clause 0x1
	global_load_b64 v[34:35], v28, s[8:9] offset:368
	global_load_b64 v[36:37], v29, s[8:9] offset:368
	s_wait_alu 0xf1ff
	v_cndmask_b32_e64 v28, 0, 0x240, s1
	v_lshlrev_b32_e32 v29, 1, v30
	global_wb scope:SCOPE_SE
	s_wait_loadcnt_dscnt 0x0
	s_barrier_signal -1
	s_barrier_wait -1
	v_add3_u32 v27, 0, v28, v27
	v_mul_u32_u24_e32 v28, 0x240, v25
	v_lshl_add_u32 v25, v12, 1, 0
	global_inv scope:SCOPE_SE
	v_add3_u32 v28, 0, v28, v29
	v_lshrrev_b32_e32 v12, 16, v32
	v_lshrrev_b32_e32 v30, 16, v33
	s_delay_alu instid0(VALU_DEP_2) | instskip(SKIP_1) | instid1(VALU_DEP_3)
	v_mul_f16_e32 v31, v26, v12
	v_mul_f16_e32 v12, v21, v12
	v_mul_f16_e32 v38, v24, v30
	v_mul_f16_e32 v29, v20, v30
	v_lshrrev_b32_e32 v30, 16, v34
	v_lshrrev_b32_e32 v39, 16, v35
	;; [unrolled: 1-line block ×3, first 2 shown]
	v_fma_f16 v31, v21, v32, -v31
	v_fmac_f16_e32 v12, v26, v32
	v_fma_f16 v32, v20, v33, -v38
	v_fmac_f16_e32 v29, v24, v33
	v_mul_f16_e32 v33, v23, v30
	v_mul_f16_e32 v26, v19, v30
	;; [unrolled: 1-line block ×3, first 2 shown]
	v_lshrrev_b32_e32 v41, 16, v37
	v_mul_f16_e32 v24, v18, v39
	v_mul_f16_e32 v39, v3, v40
	v_fma_f16 v30, v19, v34, -v33
	v_fmac_f16_e32 v26, v23, v34
	v_fma_f16 v23, v18, v35, -v38
	v_add_f16_e32 v42, v31, v32
	v_mul_f16_e32 v21, v2, v40
	v_mul_f16_e32 v40, v13, v41
	v_fmac_f16_e32 v24, v22, v35
	v_fma_f16 v18, v2, v36, -v39
	v_add_f16_e32 v2, v30, v23
	v_mul_f16_e32 v20, v11, v41
	v_add_f16_e32 v41, v15, v31
	v_sub_f16_e32 v43, v12, v29
	v_fmac_f16_e32 v15, -0.5, v42
	v_fmac_f16_e32 v21, v3, v36
	v_add_f16_e32 v3, v16, v30
	v_fma_f16 v19, v11, v37, -v40
	v_sub_f16_e32 v11, v26, v24
	v_fmac_f16_e32 v16, -0.5, v2
	v_fmac_f16_e32 v20, v13, v37
	v_add_f16_e32 v2, v41, v32
	v_fmamk_f16 v13, v43, 0x3aee, v15
	v_fmac_f16_e32 v15, 0xbaee, v43
	v_add_f16_e32 v3, v3, v23
	v_fmamk_f16 v22, v11, 0x3aee, v16
	v_fmac_f16_e32 v16, 0xbaee, v11
	ds_store_b16 v27, v2
	ds_store_b16 v27, v13 offset:192
	ds_store_b16 v27, v15 offset:384
	ds_store_b16 v28, v3
	ds_store_b16 v28, v22 offset:192
	ds_store_b16 v28, v16 offset:384
	s_and_saveexec_b32 s1, s0
	s_cbranch_execz .LBB0_27
; %bb.26:
	v_add_f16_e32 v2, v18, v19
	v_add_f16_e32 v11, v1, v18
	v_sub_f16_e32 v3, v21, v20
	s_delay_alu instid0(VALU_DEP_3) | instskip(NEXT) | instid1(VALU_DEP_3)
	v_fma_f16 v1, -0.5, v2, v1
	v_add_f16_e32 v2, v11, v19
	s_delay_alu instid0(VALU_DEP_2)
	v_fmamk_f16 v11, v3, 0xbaee, v1
	v_fmac_f16_e32 v1, 0x3aee, v3
	ds_store_b16 v25, v2 offset:1728
	ds_store_b16 v25, v1 offset:1920
	;; [unrolled: 1-line block ×3, first 2 shown]
.LBB0_27:
	s_wait_alu 0xfffe
	s_or_b32 exec_lo, exec_lo, s1
	v_add_f16_e32 v1, v12, v29
	v_add_f16_e32 v22, v14, v12
	global_wb scope:SCOPE_SE
	s_wait_dscnt 0x0
	s_barrier_signal -1
	s_barrier_wait -1
	v_fmac_f16_e32 v14, -0.5, v1
	global_inv scope:SCOPE_SE
	ds_load_u16 v1, v9
	ds_load_u16 v12, v9 offset:2016
	ds_load_u16 v3, v9 offset:1728
	;; [unrolled: 1-line block ×7, first 2 shown]
	v_sub_f16_e32 v31, v31, v32
	v_add_f16_e32 v32, v26, v24
	v_add_f16_e32 v26, v17, v26
	v_sub_f16_e32 v23, v30, v23
	v_add_f16_e32 v22, v22, v29
	v_fmamk_f16 v29, v31, 0xbaee, v14
	v_fmac_f16_e32 v17, -0.5, v32
	v_fmac_f16_e32 v14, 0x3aee, v31
	v_add_f16_e32 v24, v26, v24
	global_wb scope:SCOPE_SE
	s_wait_dscnt 0x0
	s_barrier_signal -1
	v_fmamk_f16 v26, v23, 0xbaee, v17
	v_fmac_f16_e32 v17, 0x3aee, v23
	s_barrier_wait -1
	global_inv scope:SCOPE_SE
	ds_store_b16 v27, v22
	ds_store_b16 v27, v29 offset:192
	ds_store_b16 v27, v14 offset:384
	ds_store_b16 v28, v24
	ds_store_b16 v28, v26 offset:192
	ds_store_b16 v28, v17 offset:384
	s_and_saveexec_b32 s1, s0
	s_cbranch_execz .LBB0_29
; %bb.28:
	v_add_f16_e32 v14, v21, v20
	v_add_f16_e32 v17, v0, v21
	v_sub_f16_e32 v18, v18, v19
	s_delay_alu instid0(VALU_DEP_3) | instskip(NEXT) | instid1(VALU_DEP_3)
	v_fmac_f16_e32 v0, -0.5, v14
	v_add_f16_e32 v14, v17, v20
	s_delay_alu instid0(VALU_DEP_2)
	v_fmamk_f16 v17, v18, 0xbaee, v0
	v_fmac_f16_e32 v0, 0x3aee, v18
	ds_store_b16 v25, v14 offset:1728
	ds_store_b16 v25, v17 offset:1920
	;; [unrolled: 1-line block ×3, first 2 shown]
.LBB0_29:
	s_wait_alu 0xfffe
	s_or_b32 exec_lo, exec_lo, s1
	global_wb scope:SCOPE_SE
	s_wait_dscnt 0x0
	s_barrier_signal -1
	s_barrier_wait -1
	global_inv scope:SCOPE_SE
	s_and_saveexec_b32 s0, vcc_lo
	s_cbranch_execz .LBB0_31
; %bb.30:
	v_mul_u32_u24_e32 v0, 3, v10
	v_mul_u32_u24_e32 v10, 3, v8
	v_add_nc_u32_e32 v14, 0x90, v8
	v_mul_hi_u32 v23, 0x38e38e39, v8
	v_lshlrev_b64_e32 v[4:5], 2, v[4:5]
	v_lshlrev_b32_e32 v0, 2, v0
	v_lshlrev_b32_e32 v10, 2, v10
	v_mul_hi_u32 v24, 0x38e38e39, v14
	s_clause 0x1
	global_load_b96 v[17:19], v0, s[8:9] offset:1136
	global_load_b96 v[20:22], v10, s[8:9] offset:1136
	v_mul_lo_u32 v0, s3, v6
	v_mul_lo_u32 v10, s2, v7
	v_mad_co_u64_u32 v[6:7], null, s2, v6, 0
	v_lshrrev_b32_e32 v23, 6, v23
	v_lshrrev_b32_e32 v25, 6, v24
	ds_load_u16 v27, v9 offset:2016
	ds_load_u16 v28, v9 offset:1728
	;; [unrolled: 1-line block ×7, first 2 shown]
	ds_load_u16 v34, v9
	v_mov_b32_e32 v9, 0
	v_add3_u32 v7, v7, v10, v0
	v_mul_u32_u24_e32 v0, 0x120, v23
	v_mul_u32_u24_e32 v10, 0x120, v25
	s_delay_alu instid0(VALU_DEP_3) | instskip(NEXT) | instid1(VALU_DEP_3)
	v_lshlrev_b64_e32 v[6:7], 2, v[6:7]
	v_sub_nc_u32_e32 v0, v8, v0
	s_delay_alu instid0(VALU_DEP_3) | instskip(NEXT) | instid1(VALU_DEP_3)
	v_sub_nc_u32_e32 v8, v14, v10
	v_add_co_u32 v6, vcc_lo, s6, v6
	s_delay_alu instid0(VALU_DEP_2)
	v_mad_u32_u24 v8, 0x480, v25, v8
	s_wait_alu 0xfffd
	v_add_co_ci_u32_e32 v7, vcc_lo, s7, v7, vcc_lo
	v_mov_b32_e32 v24, v9
	v_lshlrev_b32_e32 v0, 2, v0
	v_add_nc_u32_e32 v23, 0x120, v8
	v_add_co_u32 v10, vcc_lo, v6, v4
	s_wait_alu 0xfffd
	v_add_co_ci_u32_e32 v14, vcc_lo, v7, v5, vcc_lo
	v_lshlrev_b64_e32 v[4:5], 2, v[8:9]
	v_dual_mov_b32 v26, v9 :: v_dual_add_nc_u32 v25, 0x240, v8
	v_add_co_u32 v6, vcc_lo, v10, v0
	v_lshlrev_b64_e32 v[23:24], 2, v[23:24]
	v_add_nc_u32_e32 v8, 0x360, v8
	s_wait_alu 0xfffd
	v_add_co_ci_u32_e32 v7, vcc_lo, 0, v14, vcc_lo
	v_lshlrev_b64_e32 v[25:26], 2, v[25:26]
	v_add_co_u32 v4, vcc_lo, v10, v4
	s_wait_alu 0xfffd
	v_add_co_ci_u32_e32 v5, vcc_lo, v14, v5, vcc_lo
	v_lshlrev_b64_e32 v[8:9], 2, v[8:9]
	v_add_co_u32 v23, vcc_lo, v10, v23
	s_wait_alu 0xfffd
	v_add_co_ci_u32_e32 v24, vcc_lo, v14, v24, vcc_lo
	v_add_co_u32 v25, vcc_lo, v10, v25
	s_wait_alu 0xfffd
	v_add_co_ci_u32_e32 v26, vcc_lo, v14, v26, vcc_lo
	;; [unrolled: 3-line block ×3, first 2 shown]
	s_wait_loadcnt 0x1
	v_lshrrev_b32_e32 v10, 16, v18
	s_wait_loadcnt 0x0
	v_lshrrev_b32_e32 v35, 16, v20
	v_lshrrev_b32_e32 v36, 16, v21
	;; [unrolled: 1-line block ×5, first 2 shown]
	s_wait_dscnt 0x5
	v_mul_f16_e32 v38, v29, v10
	s_wait_dscnt 0x4
	v_mul_f16_e32 v41, v30, v36
	v_mul_f16_e32 v42, v11, v35
	;; [unrolled: 1-line block ×4, first 2 shown]
	s_wait_dscnt 0x2
	v_mul_f16_e32 v35, v32, v35
	v_mul_f16_e32 v37, v28, v37
	;; [unrolled: 1-line block ×7, first 2 shown]
	v_fma_f16 v16, v16, v18, -v38
	v_fma_f16 v13, v13, v21, -v41
	v_fmac_f16_e32 v42, v32, v20
	v_fmac_f16_e32 v43, v28, v22
	;; [unrolled: 1-line block ×3, first 2 shown]
	v_fma_f16 v11, v11, v20, -v35
	v_fma_f16 v3, v3, v22, -v37
	v_fmac_f16_e32 v39, v31, v17
	v_fmac_f16_e32 v40, v27, v19
	;; [unrolled: 1-line block ×3, first 2 shown]
	v_fma_f16 v0, v15, v17, -v0
	v_fma_f16 v12, v12, v19, -v14
	v_sub_f16_e32 v14, v2, v16
	v_sub_f16_e32 v13, v1, v13
	;; [unrolled: 1-line block ×3, first 2 shown]
	s_wait_dscnt 0x0
	v_sub_f16_e32 v17, v34, v36
	v_sub_f16_e32 v3, v11, v3
	;; [unrolled: 1-line block ×6, first 2 shown]
	v_add_f16_e32 v21, v17, v3
	v_fma_f16 v1, v1, 2.0, -v13
	v_fma_f16 v3, v11, 2.0, -v3
	;; [unrolled: 1-line block ×4, first 2 shown]
	v_sub_f16_e32 v18, v14, v15
	v_add_f16_e32 v19, v10, v12
	v_fma_f16 v2, v2, 2.0, -v14
	v_fma_f16 v0, v0, 2.0, -v12
	;; [unrolled: 1-line block ×4, first 2 shown]
	v_sub_f16_e32 v3, v1, v3
	v_sub_f16_e32 v16, v11, v16
	;; [unrolled: 1-line block ×3, first 2 shown]
	v_fma_f16 v13, v13, 2.0, -v20
	v_sub_f16_e32 v15, v12, v15
	v_fma_f16 v1, v1, 2.0, -v3
	v_fma_f16 v11, v11, 2.0, -v16
	;; [unrolled: 1-line block ×7, first 2 shown]
	v_pack_b32_f16 v1, v1, v11
	v_pack_b32_f16 v13, v13, v17
	;; [unrolled: 1-line block ×8, first 2 shown]
	s_clause 0x7
	global_store_b32 v[6:7], v1, off
	global_store_b32 v[6:7], v13, off offset:1152
	global_store_b32 v[6:7], v3, off offset:2304
	;; [unrolled: 1-line block ×3, first 2 shown]
	global_store_b32 v[4:5], v2, off
	global_store_b32 v[23:24], v10, off
	;; [unrolled: 1-line block ×4, first 2 shown]
.LBB0_31:
	s_nop 0
	s_sendmsg sendmsg(MSG_DEALLOC_VGPRS)
	s_endpgm
	.section	.rodata,"a",@progbits
	.p2align	6, 0x0
	.amdhsa_kernel fft_rtc_fwd_len1152_factors_4_3_8_3_4_wgs_144_tpt_144_halfLds_half_op_CI_CI_unitstride_sbrr_dirReg
		.amdhsa_group_segment_fixed_size 0
		.amdhsa_private_segment_fixed_size 0
		.amdhsa_kernarg_size 104
		.amdhsa_user_sgpr_count 2
		.amdhsa_user_sgpr_dispatch_ptr 0
		.amdhsa_user_sgpr_queue_ptr 0
		.amdhsa_user_sgpr_kernarg_segment_ptr 1
		.amdhsa_user_sgpr_dispatch_id 0
		.amdhsa_user_sgpr_private_segment_size 0
		.amdhsa_wavefront_size32 1
		.amdhsa_uses_dynamic_stack 0
		.amdhsa_enable_private_segment 0
		.amdhsa_system_sgpr_workgroup_id_x 1
		.amdhsa_system_sgpr_workgroup_id_y 0
		.amdhsa_system_sgpr_workgroup_id_z 0
		.amdhsa_system_sgpr_workgroup_info 0
		.amdhsa_system_vgpr_workitem_id 0
		.amdhsa_next_free_vgpr 48
		.amdhsa_next_free_sgpr 39
		.amdhsa_reserve_vcc 1
		.amdhsa_float_round_mode_32 0
		.amdhsa_float_round_mode_16_64 0
		.amdhsa_float_denorm_mode_32 3
		.amdhsa_float_denorm_mode_16_64 3
		.amdhsa_fp16_overflow 0
		.amdhsa_workgroup_processor_mode 1
		.amdhsa_memory_ordered 1
		.amdhsa_forward_progress 0
		.amdhsa_round_robin_scheduling 0
		.amdhsa_exception_fp_ieee_invalid_op 0
		.amdhsa_exception_fp_denorm_src 0
		.amdhsa_exception_fp_ieee_div_zero 0
		.amdhsa_exception_fp_ieee_overflow 0
		.amdhsa_exception_fp_ieee_underflow 0
		.amdhsa_exception_fp_ieee_inexact 0
		.amdhsa_exception_int_div_zero 0
	.end_amdhsa_kernel
	.text
.Lfunc_end0:
	.size	fft_rtc_fwd_len1152_factors_4_3_8_3_4_wgs_144_tpt_144_halfLds_half_op_CI_CI_unitstride_sbrr_dirReg, .Lfunc_end0-fft_rtc_fwd_len1152_factors_4_3_8_3_4_wgs_144_tpt_144_halfLds_half_op_CI_CI_unitstride_sbrr_dirReg
                                        ; -- End function
	.section	.AMDGPU.csdata,"",@progbits
; Kernel info:
; codeLenInByte = 6380
; NumSgprs: 41
; NumVgprs: 48
; ScratchSize: 0
; MemoryBound: 0
; FloatMode: 240
; IeeeMode: 1
; LDSByteSize: 0 bytes/workgroup (compile time only)
; SGPRBlocks: 5
; VGPRBlocks: 5
; NumSGPRsForWavesPerEU: 41
; NumVGPRsForWavesPerEU: 48
; Occupancy: 15
; WaveLimiterHint : 1
; COMPUTE_PGM_RSRC2:SCRATCH_EN: 0
; COMPUTE_PGM_RSRC2:USER_SGPR: 2
; COMPUTE_PGM_RSRC2:TRAP_HANDLER: 0
; COMPUTE_PGM_RSRC2:TGID_X_EN: 1
; COMPUTE_PGM_RSRC2:TGID_Y_EN: 0
; COMPUTE_PGM_RSRC2:TGID_Z_EN: 0
; COMPUTE_PGM_RSRC2:TIDIG_COMP_CNT: 0
	.text
	.p2alignl 7, 3214868480
	.fill 96, 4, 3214868480
	.type	__hip_cuid_31e53990fbc2043a,@object ; @__hip_cuid_31e53990fbc2043a
	.section	.bss,"aw",@nobits
	.globl	__hip_cuid_31e53990fbc2043a
__hip_cuid_31e53990fbc2043a:
	.byte	0                               ; 0x0
	.size	__hip_cuid_31e53990fbc2043a, 1

	.ident	"AMD clang version 19.0.0git (https://github.com/RadeonOpenCompute/llvm-project roc-6.4.0 25133 c7fe45cf4b819c5991fe208aaa96edf142730f1d)"
	.section	".note.GNU-stack","",@progbits
	.addrsig
	.addrsig_sym __hip_cuid_31e53990fbc2043a
	.amdgpu_metadata
---
amdhsa.kernels:
  - .args:
      - .actual_access:  read_only
        .address_space:  global
        .offset:         0
        .size:           8
        .value_kind:     global_buffer
      - .offset:         8
        .size:           8
        .value_kind:     by_value
      - .actual_access:  read_only
        .address_space:  global
        .offset:         16
        .size:           8
        .value_kind:     global_buffer
      - .actual_access:  read_only
        .address_space:  global
        .offset:         24
        .size:           8
        .value_kind:     global_buffer
      - .actual_access:  read_only
        .address_space:  global
        .offset:         32
        .size:           8
        .value_kind:     global_buffer
      - .offset:         40
        .size:           8
        .value_kind:     by_value
      - .actual_access:  read_only
        .address_space:  global
        .offset:         48
        .size:           8
        .value_kind:     global_buffer
      - .actual_access:  read_only
        .address_space:  global
        .offset:         56
        .size:           8
        .value_kind:     global_buffer
      - .offset:         64
        .size:           4
        .value_kind:     by_value
      - .actual_access:  read_only
        .address_space:  global
        .offset:         72
        .size:           8
        .value_kind:     global_buffer
      - .actual_access:  read_only
        .address_space:  global
        .offset:         80
        .size:           8
        .value_kind:     global_buffer
      - .actual_access:  read_only
        .address_space:  global
        .offset:         88
        .size:           8
        .value_kind:     global_buffer
      - .actual_access:  write_only
        .address_space:  global
        .offset:         96
        .size:           8
        .value_kind:     global_buffer
    .group_segment_fixed_size: 0
    .kernarg_segment_align: 8
    .kernarg_segment_size: 104
    .language:       OpenCL C
    .language_version:
      - 2
      - 0
    .max_flat_workgroup_size: 144
    .name:           fft_rtc_fwd_len1152_factors_4_3_8_3_4_wgs_144_tpt_144_halfLds_half_op_CI_CI_unitstride_sbrr_dirReg
    .private_segment_fixed_size: 0
    .sgpr_count:     41
    .sgpr_spill_count: 0
    .symbol:         fft_rtc_fwd_len1152_factors_4_3_8_3_4_wgs_144_tpt_144_halfLds_half_op_CI_CI_unitstride_sbrr_dirReg.kd
    .uniform_work_group_size: 1
    .uses_dynamic_stack: false
    .vgpr_count:     48
    .vgpr_spill_count: 0
    .wavefront_size: 32
    .workgroup_processor_mode: 1
amdhsa.target:   amdgcn-amd-amdhsa--gfx1201
amdhsa.version:
  - 1
  - 2
...

	.end_amdgpu_metadata
